;; amdgpu-corpus repo=zjin-lcf/HeCBench kind=compiled arch=gfx1250 opt=O3
	.amdgcn_target "amdgcn-amd-amdhsa--gfx1250"
	.amdhsa_code_object_version 6
	.text
	.protected	_Z19forward_pass_kernelPKfPfif ; -- Begin function _Z19forward_pass_kernelPKfPfif
	.globl	_Z19forward_pass_kernelPKfPfif
	.p2align	8
	.type	_Z19forward_pass_kernelPKfPfif,@function
_Z19forward_pass_kernelPKfPfif:         ; @_Z19forward_pass_kernelPKfPfif
; %bb.0:
	s_clause 0x1
	s_load_b32 s6, s[0:1], 0x24
	s_load_b64 s[4:5], s[0:1], 0x10
	s_bfe_u32 s2, ttmp6, 0x4000c
	s_and_b32 s3, ttmp6, 15
	s_add_co_i32 s2, s2, 1
	s_getreg_b32 s7, hwreg(HW_REG_IB_STS2, 6, 4)
	s_mul_i32 s2, ttmp9, s2
	s_delay_alu instid0(SALU_CYCLE_1) | instskip(SKIP_4) | instid1(SALU_CYCLE_1)
	s_add_co_i32 s3, s3, s2
	s_cmp_eq_u32 s7, 0
	s_cselect_b32 s7, ttmp9, s3
	s_wait_kmcnt 0x0
	s_and_b32 s2, s6, 0xffff
	v_mad_u32 v2, s7, s2, v0
	s_mov_b32 s2, exec_lo
	s_delay_alu instid0(VALU_DEP_1)
	v_cmpx_gt_i32_e64 s4, v2
	s_cbranch_execz .LBB0_8
; %bb.1:
	s_load_b128 s[0:3], s[0:1], 0x0
	v_and_b32_e32 v0, 1, v0
	s_bitcmp1_b32 s7, 0
	v_dual_ashrrev_i32 v3, 31, v2 :: v_dual_bitop2_b32 v1, 1, v2 bitop3:0x40
	s_delay_alu instid0(VALU_DEP_1)
	v_cmp_eq_u32_e32 vcc_lo, 0, v1
	v_cndmask_b32_e64 v1, -1.0, 1.0, vcc_lo
	v_cndmask_b32_e64 v4, 1.0, -1.0, vcc_lo
	s_wait_kmcnt 0x0
	global_load_b32 v6, v2, s[0:1] scale_offset
	s_wait_xcnt 0x0
	s_cselect_b32 s1, -1, 0
	s_bitcmp1_b32 s6, 0
	v_cmp_eq_u32_e64 s0, 1, v0
	s_cselect_b32 s4, -1, 0
	s_delay_alu instid0(SALU_CYCLE_1) | instskip(NEXT) | instid1(SALU_CYCLE_1)
	s_and_b32 s1, s1, s4
	s_xor_b32 s0, s1, s0
	s_delay_alu instid0(SALU_CYCLE_1)
	v_cndmask_b32_e64 v5, 1.0, -1.0, s0
	s_wait_loadcnt 0x0
	v_mul_f32_e32 v0, s5, v6
	v_cndmask_b32_e64 v6, -1.0, 1.0, s0
	s_movk_i32 s0, 0x100
.LBB0_2:                                ; =>This Inner Loop Header: Depth=1
	s_delay_alu instid0(VALU_DEP_1) | instskip(SKIP_1) | instid1(SALU_CYCLE_1)
	v_add_f32_e32 v0, v0, v1
	s_add_co_i32 s0, s0, -16
	s_cmp_eq_u32 s0, 0
	s_delay_alu instid0(VALU_DEP_1) | instskip(NEXT) | instid1(VALU_DEP_1)
	v_add_f32_e32 v0, v0, v4
	v_add_f32_e32 v0, v0, v5
	s_delay_alu instid0(VALU_DEP_1) | instskip(NEXT) | instid1(VALU_DEP_1)
	v_add_f32_e32 v0, v0, v6
	v_add_f32_e32 v0, v0, v1
	;; [unrolled: 3-line block ×7, first 2 shown]
	s_delay_alu instid0(VALU_DEP_1)
	v_add_f32_e32 v0, v0, v6
	s_cbranch_scc0 .LBB0_2
; %bb.3:
	s_delay_alu instid0(VALU_DEP_1)
	v_and_b32_e32 v1, 0x7fffffff, v0
                                        ; implicit-def: $vgpr5
                                        ; implicit-def: $vgpr4
	s_mov_b32 s1, exec_lo
	v_cmpx_ngt_f32_e64 0x48000000, |v0|
	s_xor_b32 s4, exec_lo, s1
	s_cbranch_execz .LBB0_5
; %bb.4:
	s_mov_b32 s0, 0x7fffff
	v_mov_b32_e32 v5, 0
	v_and_or_b32 v4, v1, s0, 0x800000
	s_mov_b64 s[0:1], 0xfe5163ab
	s_delay_alu instid0(VALU_DEP_1) | instid1(SALU_CYCLE_1)
	v_mul_u64_e32 v[6:7], s[0:1], v[4:5]
	s_delay_alu instid0(VALU_DEP_1) | instskip(SKIP_2) | instid1(VALU_DEP_3)
	v_dual_mov_b32 v8, v7 :: v_dual_mov_b32 v9, v5
	v_dual_mov_b32 v11, v5 :: v_dual_mov_b32 v13, v5
	v_dual_mov_b32 v15, v5 :: v_dual_lshrrev_b32 v7, 23, v1
	v_mad_nc_u64_u32 v[8:9], 0x3c439041, v4, v[8:9]
	s_delay_alu instid0(VALU_DEP_1) | instskip(NEXT) | instid1(VALU_DEP_1)
	v_mov_b32_e32 v10, v9
	v_mad_nc_u64_u32 v[10:11], 0xdb629599, v4, v[10:11]
	s_delay_alu instid0(VALU_DEP_1) | instskip(NEXT) | instid1(VALU_DEP_1)
	v_mov_b32_e32 v12, v11
	;; [unrolled: 3-line block ×3, first 2 shown]
	v_mad_nc_u64_u32 v[14:15], 0xfc2757d1, v4, v[14:15]
	s_delay_alu instid0(VALU_DEP_1) | instskip(NEXT) | instid1(VALU_DEP_1)
	v_dual_mov_b32 v17, v5 :: v_dual_mov_b32 v16, v15
	v_mad_nc_u64_u32 v[16:17], 0x4e441529, v4, v[16:17]
	s_delay_alu instid0(VALU_DEP_1) | instskip(NEXT) | instid1(VALU_DEP_1)
	v_dual_mov_b32 v18, v17 :: v_dual_add_nc_u32 v7, 0xffffff88, v7
	v_cmp_lt_u32_e32 vcc_lo, 63, v7
	v_mov_b32_e32 v19, v5
	v_cndmask_b32_e64 v9, 0, 0xffffffc0, vcc_lo
	s_delay_alu instid0(VALU_DEP_2) | instskip(SKIP_1) | instid1(VALU_DEP_3)
	v_mad_nc_u64_u32 v[4:5], 0xa2f9836e, v4, v[18:19]
	v_dual_cndmask_b32 v11, v16, v12, vcc_lo :: v_dual_cndmask_b32 v13, v14, v10, vcc_lo
	v_dual_cndmask_b32 v8, v12, v8 :: v_dual_add_nc_u32 v7, v9, v7
	v_cndmask_b32_e32 v6, v10, v6, vcc_lo
	s_delay_alu instid0(VALU_DEP_2) | instskip(SKIP_1) | instid1(VALU_DEP_2)
	v_cmp_lt_u32_e64 s0, 31, v7
	v_dual_cndmask_b32 v4, v4, v14 :: v_dual_cndmask_b32 v5, v5, v16
	v_cndmask_b32_e64 v9, 0, 0xffffffe0, s0
	s_delay_alu instid0(VALU_DEP_4) | instskip(NEXT) | instid1(VALU_DEP_2)
	v_dual_cndmask_b32 v12, v13, v8, s0 :: v_dual_cndmask_b32 v6, v8, v6, s0
	v_add_nc_u32_e32 v7, v9, v7
	s_delay_alu instid0(VALU_DEP_1) | instskip(NEXT) | instid1(VALU_DEP_1)
	v_cmp_lt_u32_e64 s1, 31, v7
	v_cndmask_b32_e64 v9, 0, 0xffffffe0, s1
	s_delay_alu instid0(VALU_DEP_1) | instskip(SKIP_1) | instid1(VALU_DEP_2)
	v_dual_cndmask_b32 v6, v12, v6, s1 :: v_dual_add_nc_u32 v7, v9, v7
	v_dual_cndmask_b32 v9, v4, v11, s0 :: v_dual_cndmask_b32 v4, v5, v4, s0
	v_dual_cndmask_b32 v5, v11, v13, s0 :: v_dual_sub_nc_u32 v11, 32, v7
	v_cmp_eq_u32_e32 vcc_lo, 0, v7
	s_delay_alu instid0(VALU_DEP_3) | instskip(NEXT) | instid1(VALU_DEP_3)
	v_cndmask_b32_e64 v4, v4, v9, s1
	v_cndmask_b32_e64 v9, v9, v5, s1
	;; [unrolled: 1-line block ×3, first 2 shown]
	s_delay_alu instid0(VALU_DEP_2) | instskip(NEXT) | instid1(VALU_DEP_2)
	v_alignbit_b32 v13, v4, v9, v11
	v_alignbit_b32 v10, v9, v5, v11
	;; [unrolled: 1-line block ×3, first 2 shown]
	s_delay_alu instid0(VALU_DEP_2) | instskip(NEXT) | instid1(VALU_DEP_2)
	v_dual_cndmask_b32 v4, v13, v4 :: v_dual_cndmask_b32 v7, v10, v9
	v_cndmask_b32_e32 v5, v11, v5, vcc_lo
	s_delay_alu instid0(VALU_DEP_2) | instskip(NEXT) | instid1(VALU_DEP_3)
	v_bfe_u32 v8, v4, 29, 1
	v_alignbit_b32 v9, v4, v7, 30
	s_delay_alu instid0(VALU_DEP_3) | instskip(SKIP_1) | instid1(VALU_DEP_4)
	v_alignbit_b32 v7, v7, v5, 30
	v_alignbit_b32 v5, v5, v6, 30
	v_sub_nc_u32_e32 v10, 0, v8
	s_delay_alu instid0(VALU_DEP_1) | instskip(NEXT) | instid1(VALU_DEP_4)
	v_xor_b32_e32 v9, v9, v10
	v_xor_b32_e32 v6, v7, v10
	s_delay_alu instid0(VALU_DEP_4) | instskip(NEXT) | instid1(VALU_DEP_3)
	v_dual_lshrrev_b32 v10, 29, v4 :: v_dual_bitop2_b32 v5, v5, v10 bitop3:0x14
	v_clz_i32_u32_e32 v11, v9
	s_delay_alu instid0(VALU_DEP_1) | instskip(NEXT) | instid1(VALU_DEP_1)
	v_min_u32_e32 v11, 32, v11
	v_dual_sub_nc_u32 v7, 31, v11 :: v_dual_lshlrev_b32 v12, 23, v11
	s_delay_alu instid0(VALU_DEP_1) | instskip(SKIP_2) | instid1(VALU_DEP_2)
	v_alignbit_b32 v9, v9, v6, v7
	v_alignbit_b32 v5, v6, v5, v7
	v_lshlrev_b32_e32 v6, 31, v10
	v_alignbit_b32 v7, v9, v5, 9
	s_delay_alu instid0(VALU_DEP_2) | instskip(SKIP_1) | instid1(VALU_DEP_3)
	v_dual_lshrrev_b32 v9, 9, v9 :: v_dual_bitop2_b32 v10, 0.5, v6 bitop3:0x54
	v_or_b32_e32 v6, 0x33000000, v6
	v_clz_i32_u32_e32 v13, v7
	s_delay_alu instid0(VALU_DEP_3) | instskip(NEXT) | instid1(VALU_DEP_2)
	v_sub_nc_u32_e32 v10, v10, v12
	v_min_u32_e32 v12, 32, v13
	s_delay_alu instid0(VALU_DEP_1) | instskip(NEXT) | instid1(VALU_DEP_3)
	v_add_lshl_u32 v11, v12, v11, 23
	v_or_b32_e32 v9, v9, v10
	v_not_b32_e32 v10, v12
	s_delay_alu instid0(VALU_DEP_2) | instskip(NEXT) | instid1(VALU_DEP_2)
	v_dual_mul_f32 v13, 0x3fc90fda, v9 :: v_dual_sub_nc_u32 v6, v6, v11
	v_alignbit_b32 v5, v7, v5, v10
	s_delay_alu instid0(VALU_DEP_2) | instskip(NEXT) | instid1(VALU_DEP_2)
	v_fma_f32 v7, 0x3fc90fda, v9, -v13
	v_lshrrev_b32_e32 v5, 9, v5
	s_delay_alu instid0(VALU_DEP_2) | instskip(NEXT) | instid1(VALU_DEP_2)
	v_fmamk_f32 v7, v9, 0x33a22168, v7
	v_or_b32_e32 v5, v6, v5
	s_delay_alu instid0(VALU_DEP_1) | instskip(NEXT) | instid1(VALU_DEP_1)
	v_fmac_f32_e32 v7, 0x3fc90fda, v5
	v_dual_add_f32 v4, v13, v7 :: v_dual_lshrrev_b32 v5, 30, v4
	s_delay_alu instid0(VALU_DEP_1)
	v_add_nc_u32_e32 v5, v8, v5
.LBB0_5:
	s_and_not1_saveexec_b32 s0, s4
; %bb.6:
	v_mul_f32_e64 v4, 0x3f22f983, |v0|
	s_delay_alu instid0(VALU_DEP_1) | instskip(NEXT) | instid1(VALU_DEP_1)
	v_rndne_f32_e32 v5, v4
	v_fma_f32 v4, 0xbfc90fda, v5, |v0|
	s_delay_alu instid0(VALU_DEP_1) | instskip(NEXT) | instid1(VALU_DEP_1)
	v_fmamk_f32 v4, v5, 0xb3a22168, v4
	v_fmamk_f32 v4, v5, 0xa7c234c4, v4
	v_cvt_i32_f32_e32 v5, v5
; %bb.7:
	s_or_b32 exec_lo, exec_lo, s0
	s_delay_alu instid0(VALU_DEP_1) | instskip(SKIP_3) | instid1(VALU_DEP_2)
	v_dual_mul_f32 v6, v4, v4 :: v_dual_bitop2_b32 v9, 1, v5 bitop3:0x40
	s_mov_b32 s0, 0xb94c1982
	s_mov_b32 s1, 0x37d75334
	v_lshlrev_b32_e32 v5, 30, v5
	v_fmaak_f32 v7, s0, v6, 0x3c0881c4
	v_cmp_eq_u32_e32 vcc_lo, 0, v9
	v_xor_b32_e32 v1, v1, v0
	s_delay_alu instid0(VALU_DEP_4) | instskip(NEXT) | instid1(VALU_DEP_4)
	v_and_b32_e32 v5, 0x80000000, v5
	v_fmaak_f32 v7, v6, v7, 0xbe2aaa9d
	s_delay_alu instid0(VALU_DEP_1) | instskip(NEXT) | instid1(VALU_DEP_1)
	v_dual_fmaak_f32 v8, s1, v6, 0xbab64f3b :: v_dual_mul_f32 v7, v6, v7
	v_fmaak_f32 v8, v6, v8, 0x3d2aabf7
	s_delay_alu instid0(VALU_DEP_2) | instskip(NEXT) | instid1(VALU_DEP_2)
	v_fmac_f32_e32 v4, v4, v7
	v_fmaak_f32 v8, v6, v8, 0xbf000004
	s_delay_alu instid0(VALU_DEP_1) | instskip(NEXT) | instid1(VALU_DEP_1)
	v_fma_f32 v6, v6, v8, 1.0
	v_cndmask_b32_e32 v4, v6, v4, vcc_lo
	v_cmp_class_f32_e64 vcc_lo, v0, 0x1f8
	s_delay_alu instid0(VALU_DEP_2) | instskip(NEXT) | instid1(VALU_DEP_1)
	v_xor3_b32 v1, v1, v5, v4
	v_cndmask_b32_e32 v4, 0x7fc00000, v1, vcc_lo
	v_lshl_add_u64 v[0:1], v[2:3], 2, s[2:3]
	global_store_b32 v[0:1], v4, off
.LBB0_8:
	s_endpgm
	.section	.rodata,"a",@progbits
	.p2align	6, 0x0
	.amdhsa_kernel _Z19forward_pass_kernelPKfPfif
		.amdhsa_group_segment_fixed_size 0
		.amdhsa_private_segment_fixed_size 0
		.amdhsa_kernarg_size 280
		.amdhsa_user_sgpr_count 2
		.amdhsa_user_sgpr_dispatch_ptr 0
		.amdhsa_user_sgpr_queue_ptr 0
		.amdhsa_user_sgpr_kernarg_segment_ptr 1
		.amdhsa_user_sgpr_dispatch_id 0
		.amdhsa_user_sgpr_kernarg_preload_length 0
		.amdhsa_user_sgpr_kernarg_preload_offset 0
		.amdhsa_user_sgpr_private_segment_size 0
		.amdhsa_wavefront_size32 1
		.amdhsa_uses_dynamic_stack 0
		.amdhsa_enable_private_segment 0
		.amdhsa_system_sgpr_workgroup_id_x 1
		.amdhsa_system_sgpr_workgroup_id_y 0
		.amdhsa_system_sgpr_workgroup_id_z 0
		.amdhsa_system_sgpr_workgroup_info 0
		.amdhsa_system_vgpr_workitem_id 0
		.amdhsa_next_free_vgpr 20
		.amdhsa_next_free_sgpr 8
		.amdhsa_named_barrier_count 0
		.amdhsa_reserve_vcc 1
		.amdhsa_float_round_mode_32 0
		.amdhsa_float_round_mode_16_64 0
		.amdhsa_float_denorm_mode_32 3
		.amdhsa_float_denorm_mode_16_64 3
		.amdhsa_fp16_overflow 0
		.amdhsa_memory_ordered 1
		.amdhsa_forward_progress 1
		.amdhsa_inst_pref_size 11
		.amdhsa_round_robin_scheduling 0
		.amdhsa_exception_fp_ieee_invalid_op 0
		.amdhsa_exception_fp_denorm_src 0
		.amdhsa_exception_fp_ieee_div_zero 0
		.amdhsa_exception_fp_ieee_overflow 0
		.amdhsa_exception_fp_ieee_underflow 0
		.amdhsa_exception_fp_ieee_inexact 0
		.amdhsa_exception_int_div_zero 0
	.end_amdhsa_kernel
	.text
.Lfunc_end0:
	.size	_Z19forward_pass_kernelPKfPfif, .Lfunc_end0-_Z19forward_pass_kernelPKfPfif
                                        ; -- End function
	.set _Z19forward_pass_kernelPKfPfif.num_vgpr, 20
	.set _Z19forward_pass_kernelPKfPfif.num_agpr, 0
	.set _Z19forward_pass_kernelPKfPfif.numbered_sgpr, 8
	.set _Z19forward_pass_kernelPKfPfif.num_named_barrier, 0
	.set _Z19forward_pass_kernelPKfPfif.private_seg_size, 0
	.set _Z19forward_pass_kernelPKfPfif.uses_vcc, 1
	.set _Z19forward_pass_kernelPKfPfif.uses_flat_scratch, 0
	.set _Z19forward_pass_kernelPKfPfif.has_dyn_sized_stack, 0
	.set _Z19forward_pass_kernelPKfPfif.has_recursion, 0
	.set _Z19forward_pass_kernelPKfPfif.has_indirect_call, 0
	.section	.AMDGPU.csdata,"",@progbits
; Kernel info:
; codeLenInByte = 1348
; TotalNumSgprs: 10
; NumVgprs: 20
; ScratchSize: 0
; MemoryBound: 0
; FloatMode: 240
; IeeeMode: 1
; LDSByteSize: 0 bytes/workgroup (compile time only)
; SGPRBlocks: 0
; VGPRBlocks: 1
; NumSGPRsForWavesPerEU: 10
; NumVGPRsForWavesPerEU: 20
; NamedBarCnt: 0
; Occupancy: 16
; WaveLimiterHint : 0
; COMPUTE_PGM_RSRC2:SCRATCH_EN: 0
; COMPUTE_PGM_RSRC2:USER_SGPR: 2
; COMPUTE_PGM_RSRC2:TRAP_HANDLER: 0
; COMPUTE_PGM_RSRC2:TGID_X_EN: 1
; COMPUTE_PGM_RSRC2:TGID_Y_EN: 0
; COMPUTE_PGM_RSRC2:TGID_Z_EN: 0
; COMPUTE_PGM_RSRC2:TIDIG_COMP_CNT: 0
	.text
	.protected	_Z20backward_pass_kernelPKfS0_Pfi ; -- Begin function _Z20backward_pass_kernelPKfS0_Pfi
	.globl	_Z20backward_pass_kernelPKfS0_Pfi
	.p2align	8
	.type	_Z20backward_pass_kernelPKfS0_Pfi,@function
_Z20backward_pass_kernelPKfS0_Pfi:      ; @_Z20backward_pass_kernelPKfS0_Pfi
; %bb.0:
	s_clause 0x1
	s_load_b32 s4, s[0:1], 0x2c
	s_load_b32 s3, s[0:1], 0x18
	s_bfe_u32 s2, ttmp6, 0x4000c
	s_and_b32 s5, ttmp6, 15
	s_add_co_i32 s2, s2, 1
	s_getreg_b32 s6, hwreg(HW_REG_IB_STS2, 6, 4)
	s_mul_i32 s2, ttmp9, s2
	s_delay_alu instid0(SALU_CYCLE_1) | instskip(SKIP_4) | instid1(SALU_CYCLE_1)
	s_add_co_i32 s5, s5, s2
	s_cmp_eq_u32 s6, 0
	s_cselect_b32 s5, ttmp9, s5
	s_wait_kmcnt 0x0
	s_and_b32 s2, s4, 0xffff
	v_mad_u32 v2, s5, s2, v0
	s_mov_b32 s2, exec_lo
	s_delay_alu instid0(VALU_DEP_1)
	v_cmpx_gt_i32_e64 s3, v2
	s_cbranch_execz .LBB1_12
; %bb.1:
	s_clause 0x1
	s_load_b128 s[8:11], s[0:1], 0x0
	s_load_b64 s[2:3], s[0:1], 0x10
	v_and_b32_e32 v0, 1, v0
	v_and_b32_e32 v3, 1, v2
	s_bitcmp1_b32 s5, 0
	s_wait_kmcnt 0x0
	s_clause 0x1
	global_load_b32 v6, v2, s[8:9] scale_offset
	global_load_b32 v1, v2, s[10:11] scale_offset
	s_cselect_b32 s1, -1, 0
	s_bitcmp1_b32 s4, 0
	v_cmp_eq_u32_e32 vcc_lo, 0, v3
	v_ashrrev_i32_e32 v3, 31, v2
	v_cmp_eq_u32_e64 s0, 1, v0
	s_cselect_b32 s4, -1, 0
	s_delay_alu instid0(SALU_CYCLE_1) | instskip(NEXT) | instid1(SALU_CYCLE_1)
	s_and_b32 s1, s1, s4
	s_xor_b32 s0, s1, s0
	s_wait_loadcnt 0x1
	v_dual_cndmask_b32 v0, v6, -v6, vcc_lo :: v_dual_cndmask_b32 v4, -v6, v6, vcc_lo
	v_dual_cndmask_b32 v5, -v6, v6, s0 :: v_dual_cndmask_b32 v6, v6, -v6, s0
	s_movk_i32 s0, 0x100
.LBB1_2:                                ; =>This Inner Loop Header: Depth=1
	s_wait_loadcnt 0x0
	s_delay_alu instid0(VALU_DEP_1) | instskip(SKIP_1) | instid1(SALU_CYCLE_1)
	v_add_f32_e32 v1, v1, v0
	s_add_co_i32 s0, s0, -16
	s_cmp_eq_u32 s0, 0
	s_delay_alu instid0(VALU_DEP_1) | instskip(NEXT) | instid1(VALU_DEP_1)
	v_add_f32_e32 v1, v1, v4
	v_add_f32_e32 v1, v1, v5
	s_delay_alu instid0(VALU_DEP_1) | instskip(NEXT) | instid1(VALU_DEP_1)
	v_add_f32_e32 v1, v1, v6
	v_add_f32_e32 v1, v1, v0
	;; [unrolled: 3-line block ×7, first 2 shown]
	s_delay_alu instid0(VALU_DEP_1)
	v_add_f32_e32 v1, v1, v6
	s_cbranch_scc0 .LBB1_2
; %bb.3:
	s_delay_alu instid0(VALU_DEP_1) | instskip(SKIP_1) | instid1(VALU_DEP_2)
	v_and_b32_e32 v0, 0x7fffffff, v1
	v_cmp_ngt_f32_e64 s4, 0x48000000, |v1|
                                        ; implicit-def: $vgpr5
                                        ; implicit-def: $vgpr4
	v_lshrrev_b32_e32 v6, 23, v0
	s_and_saveexec_b32 s0, s4
	s_delay_alu instid0(SALU_CYCLE_1)
	s_xor_b32 s5, exec_lo, s0
	s_cbranch_execz .LBB1_5
; %bb.4:
	s_mov_b32 s0, 0x7fffff
	v_mov_b32_e32 v5, 0
	v_and_or_b32 v4, v0, s0, 0x800000
	s_mov_b64 s[0:1], 0xfe5163ab
	v_add_nc_u32_e32 v7, 0xffffff88, v6
	s_delay_alu instid0(VALU_DEP_2) | instskip(NEXT) | instid1(VALU_DEP_2)
	v_mul_u64_e32 v[8:9], s[0:1], v[4:5]
	v_cmp_lt_u32_e32 vcc_lo, 63, v7
	s_delay_alu instid0(VALU_DEP_2) | instskip(SKIP_2) | instid1(VALU_DEP_3)
	v_dual_mov_b32 v10, v9 :: v_dual_mov_b32 v11, v5
	v_dual_mov_b32 v13, v5 :: v_dual_mov_b32 v15, v5
	;; [unrolled: 1-line block ×3, first 2 shown]
	v_mad_nc_u64_u32 v[10:11], 0x3c439041, v4, v[10:11]
	v_cndmask_b32_e64 v9, 0, 0xffffffc0, vcc_lo
	s_delay_alu instid0(VALU_DEP_2) | instskip(NEXT) | instid1(VALU_DEP_1)
	v_mov_b32_e32 v12, v11
	v_mad_nc_u64_u32 v[12:13], 0xdb629599, v4, v[12:13]
	s_delay_alu instid0(VALU_DEP_1) | instskip(NEXT) | instid1(VALU_DEP_1)
	v_dual_mov_b32 v14, v13 :: v_dual_cndmask_b32 v8, v12, v8, vcc_lo
	v_mad_nc_u64_u32 v[14:15], 0xf534ddc0, v4, v[14:15]
	s_delay_alu instid0(VALU_DEP_1) | instskip(NEXT) | instid1(VALU_DEP_1)
	v_mov_b32_e32 v16, v15
	v_mad_nc_u64_u32 v[16:17], 0xfc2757d1, v4, v[16:17]
	s_delay_alu instid0(VALU_DEP_1) | instskip(NEXT) | instid1(VALU_DEP_1)
	v_dual_mov_b32 v18, v17 :: v_dual_cndmask_b32 v13, v16, v12
	v_mad_nc_u64_u32 v[18:19], 0x4e441529, v4, v[18:19]
	v_add_nc_u32_e32 v7, v9, v7
	s_delay_alu instid0(VALU_DEP_2) | instskip(NEXT) | instid1(VALU_DEP_3)
	v_dual_mov_b32 v21, v5 :: v_dual_cndmask_b32 v11, v18, v14, vcc_lo
	v_mov_b32_e32 v20, v19
	s_delay_alu instid0(VALU_DEP_3) | instskip(NEXT) | instid1(VALU_DEP_2)
	v_cmp_lt_u32_e64 s0, 31, v7
	v_mad_nc_u64_u32 v[4:5], 0xa2f9836e, v4, v[20:21]
	s_delay_alu instid0(VALU_DEP_2) | instskip(NEXT) | instid1(VALU_DEP_1)
	v_cndmask_b32_e64 v9, 0, 0xffffffe0, s0
	v_dual_cndmask_b32 v4, v4, v16 :: v_dual_add_nc_u32 v7, v9, v7
	s_delay_alu instid0(VALU_DEP_1) | instskip(NEXT) | instid1(VALU_DEP_4)
	v_cmp_lt_u32_e64 s1, 31, v7
	v_cndmask_b32_e32 v5, v5, v18, vcc_lo
	s_delay_alu instid0(VALU_DEP_2) | instskip(NEXT) | instid1(VALU_DEP_1)
	v_cndmask_b32_e64 v9, 0, 0xffffffe0, s1
	v_dual_add_nc_u32 v7, v9, v7 :: v_dual_cndmask_b32 v9, v14, v10, vcc_lo
	s_delay_alu instid0(VALU_DEP_3) | instskip(NEXT) | instid1(VALU_DEP_2)
	v_dual_cndmask_b32 v10, v4, v11, s0 :: v_dual_cndmask_b32 v4, v5, v4, s0
	v_dual_cndmask_b32 v5, v11, v13, s0 :: v_dual_sub_nc_u32 v11, 32, v7
	s_delay_alu instid0(VALU_DEP_3) | instskip(SKIP_1) | instid1(VALU_DEP_3)
	v_cndmask_b32_e64 v13, v13, v9, s0
	v_cmp_eq_u32_e32 vcc_lo, 0, v7
	v_dual_cndmask_b32 v4, v4, v10, s1 :: v_dual_cndmask_b32 v10, v10, v5, s1
	s_delay_alu instid0(VALU_DEP_1) | instskip(NEXT) | instid1(VALU_DEP_1)
	v_alignbit_b32 v14, v4, v10, v11
	v_dual_cndmask_b32 v5, v5, v13, s1 :: v_dual_cndmask_b32 v4, v14, v4, vcc_lo
	s_delay_alu instid0(VALU_DEP_1) | instskip(SKIP_1) | instid1(VALU_DEP_3)
	v_alignbit_b32 v12, v10, v5, v11
	v_cndmask_b32_e64 v7, v9, v8, s0
	v_bfe_u32 v9, v4, 29, 1
	s_delay_alu instid0(VALU_DEP_2) | instskip(NEXT) | instid1(VALU_DEP_2)
	v_dual_cndmask_b32 v8, v12, v10, vcc_lo :: v_dual_cndmask_b32 v7, v13, v7, s1
	v_sub_nc_u32_e32 v12, 0, v9
	s_delay_alu instid0(VALU_DEP_2) | instskip(NEXT) | instid1(VALU_DEP_3)
	v_alignbit_b32 v10, v4, v8, 30
	v_alignbit_b32 v11, v5, v7, v11
	s_delay_alu instid0(VALU_DEP_1) | instskip(NEXT) | instid1(VALU_DEP_1)
	v_dual_cndmask_b32 v5, v11, v5, vcc_lo :: v_dual_bitop2_b32 v10, v10, v12 bitop3:0x14
	v_clz_i32_u32_e32 v11, v10
	s_delay_alu instid0(VALU_DEP_2) | instskip(SKIP_1) | instid1(VALU_DEP_3)
	v_alignbit_b32 v8, v8, v5, 30
	v_alignbit_b32 v5, v5, v7, 30
	v_min_u32_e32 v11, 32, v11
	s_delay_alu instid0(VALU_DEP_3) | instskip(NEXT) | instid1(VALU_DEP_3)
	v_xor_b32_e32 v7, v8, v12
	v_xor_b32_e32 v5, v5, v12
	s_delay_alu instid0(VALU_DEP_3) | instskip(SKIP_1) | instid1(VALU_DEP_1)
	v_dual_lshrrev_b32 v12, 29, v4 :: v_dual_lshlrev_b32 v13, 23, v11
	v_sub_nc_u32_e32 v8, 31, v11
	v_alignbit_b32 v10, v10, v7, v8
	s_delay_alu instid0(VALU_DEP_4) | instskip(NEXT) | instid1(VALU_DEP_4)
	v_alignbit_b32 v5, v7, v5, v8
	v_lshlrev_b32_e32 v7, 31, v12
	s_delay_alu instid0(VALU_DEP_2) | instskip(NEXT) | instid1(VALU_DEP_2)
	v_alignbit_b32 v8, v10, v5, 9
	v_dual_lshrrev_b32 v10, 9, v10 :: v_dual_bitop2_b32 v12, 0.5, v7 bitop3:0x54
	v_or_b32_e32 v7, 0x33000000, v7
	s_delay_alu instid0(VALU_DEP_3) | instskip(NEXT) | instid1(VALU_DEP_3)
	v_clz_i32_u32_e32 v14, v8
	v_sub_nc_u32_e32 v12, v12, v13
	s_delay_alu instid0(VALU_DEP_2) | instskip(NEXT) | instid1(VALU_DEP_1)
	v_min_u32_e32 v13, 32, v14
	v_add_lshl_u32 v11, v13, v11, 23
	s_delay_alu instid0(VALU_DEP_1) | instskip(SKIP_1) | instid1(VALU_DEP_1)
	v_dual_sub_nc_u32 v7, v7, v11 :: v_dual_bitop2_b32 v10, v10, v12 bitop3:0x54
	v_not_b32_e32 v12, v13
	v_alignbit_b32 v5, v8, v5, v12
	s_delay_alu instid0(VALU_DEP_1) | instskip(NEXT) | instid1(VALU_DEP_1)
	v_dual_mul_f32 v14, 0x3fc90fda, v10 :: v_dual_lshrrev_b32 v5, 9, v5
	v_or_b32_e32 v5, v7, v5
	s_delay_alu instid0(VALU_DEP_2) | instskip(NEXT) | instid1(VALU_DEP_1)
	v_fma_f32 v8, 0x3fc90fda, v10, -v14
	v_fmamk_f32 v8, v10, 0x33a22168, v8
	s_delay_alu instid0(VALU_DEP_1) | instskip(NEXT) | instid1(VALU_DEP_1)
	v_dual_fmac_f32 v8, 0x3fc90fda, v5 :: v_dual_lshrrev_b32 v5, 30, v4
	v_dual_add_f32 v4, v14, v8 :: v_dual_add_nc_u32 v5, v9, v5
	s_or_saveexec_b32 s0, s5
	v_mul_f32_e64 v9, 0x3f22f983, |v1|
	s_xor_b32 exec_lo, exec_lo, s0
	s_branch .LBB1_6
.LBB1_5:
	s_or_saveexec_b32 s0, s5
	v_mul_f32_e64 v9, 0x3f22f983, |v1|
	s_xor_b32 exec_lo, exec_lo, s0
.LBB1_6:
	s_delay_alu instid0(VALU_DEP_1) | instskip(NEXT) | instid1(VALU_DEP_1)
	v_rndne_f32_e32 v5, v9
	v_fma_f32 v4, 0xbfc90fda, v5, |v1|
	s_delay_alu instid0(VALU_DEP_1) | instskip(NEXT) | instid1(VALU_DEP_1)
	v_fmamk_f32 v4, v5, 0xb3a22168, v4
	v_fmamk_f32 v4, v5, 0xa7c234c4, v4
	v_cvt_i32_f32_e32 v5, v5
; %bb.7:
	s_or_b32 exec_lo, exec_lo, s0
                                        ; implicit-def: $vgpr8
                                        ; implicit-def: $vgpr7
	s_and_saveexec_b32 s0, s4
	s_delay_alu instid0(SALU_CYCLE_1)
	s_xor_b32 s4, exec_lo, s0
	s_cbranch_execz .LBB1_9
; %bb.8:
	s_mov_b32 s0, 0x7fffff
	v_mov_b32_e32 v9, 0
	v_and_or_b32 v8, v0, s0, 0x800000
	s_mov_b64 s[0:1], 0xfe5163ab
	s_delay_alu instid0(VALU_DEP_1) | instid1(SALU_CYCLE_1)
	v_mul_u64_e32 v[10:11], s[0:1], v[8:9]
	s_delay_alu instid0(VALU_DEP_1) | instskip(SKIP_2) | instid1(VALU_DEP_3)
	v_dual_mov_b32 v12, v11 :: v_dual_mov_b32 v13, v9
	v_dual_mov_b32 v15, v9 :: v_dual_mov_b32 v17, v9
	;; [unrolled: 1-line block ×3, first 2 shown]
	v_mad_nc_u64_u32 v[12:13], 0x3c439041, v8, v[12:13]
	v_add_nc_u32_e32 v11, 0xffffff88, v6
	s_delay_alu instid0(VALU_DEP_1) | instskip(NEXT) | instid1(VALU_DEP_3)
	v_cmp_lt_u32_e32 vcc_lo, 63, v11
	v_mov_b32_e32 v14, v13
	v_cndmask_b32_e64 v13, 0, 0xffffffc0, vcc_lo
	s_delay_alu instid0(VALU_DEP_2) | instskip(NEXT) | instid1(VALU_DEP_1)
	v_mad_nc_u64_u32 v[14:15], 0xdb629599, v8, v[14:15]
	v_dual_mov_b32 v16, v15 :: v_dual_cndmask_b32 v10, v14, v10, vcc_lo
	s_delay_alu instid0(VALU_DEP_1) | instskip(NEXT) | instid1(VALU_DEP_1)
	v_mad_nc_u64_u32 v[16:17], 0xf534ddc0, v8, v[16:17]
	v_mov_b32_e32 v18, v17
	s_delay_alu instid0(VALU_DEP_1) | instskip(NEXT) | instid1(VALU_DEP_1)
	v_mad_nc_u64_u32 v[18:19], 0xfc2757d1, v8, v[18:19]
	v_mov_b32_e32 v20, v19
	s_delay_alu instid0(VALU_DEP_1) | instskip(NEXT) | instid1(VALU_DEP_1)
	v_mad_nc_u64_u32 v[6:7], 0x4e441529, v8, v[20:21]
	v_dual_mov_b32 v20, v7 :: v_dual_add_nc_u32 v11, v13, v11
	s_delay_alu instid0(VALU_DEP_1) | instskip(NEXT) | instid1(VALU_DEP_3)
	v_cmp_lt_u32_e64 s0, 31, v11
	v_cndmask_b32_e32 v13, v6, v16, vcc_lo
	s_delay_alu instid0(VALU_DEP_3) | instskip(NEXT) | instid1(VALU_DEP_3)
	v_mad_nc_u64_u32 v[8:9], 0xa2f9836e, v8, v[20:21]
	v_cndmask_b32_e64 v7, 0, 0xffffffe0, s0
	s_delay_alu instid0(VALU_DEP_1) | instskip(NEXT) | instid1(VALU_DEP_1)
	v_add_nc_u32_e32 v7, v7, v11
	v_cmp_lt_u32_e64 s1, 31, v7
	s_delay_alu instid0(VALU_DEP_4) | instskip(NEXT) | instid1(VALU_DEP_2)
	v_cndmask_b32_e32 v6, v9, v6, vcc_lo
	v_cndmask_b32_e64 v11, 0, 0xffffffe0, s1
	s_delay_alu instid0(VALU_DEP_1) | instskip(SKIP_1) | instid1(VALU_DEP_2)
	v_dual_cndmask_b32 v8, v8, v18 :: v_dual_add_nc_u32 v7, v11, v7
	v_dual_cndmask_b32 v9, v18, v14, vcc_lo :: v_dual_cndmask_b32 v11, v16, v12, vcc_lo
	v_dual_cndmask_b32 v12, v8, v13, s0 :: v_dual_cndmask_b32 v6, v6, v8, s0
	s_delay_alu instid0(VALU_DEP_3) | instskip(NEXT) | instid1(VALU_DEP_3)
	v_cmp_eq_u32_e32 vcc_lo, 0, v7
	v_dual_cndmask_b32 v8, v13, v9, s0 :: v_dual_sub_nc_u32 v13, 32, v7
	s_delay_alu instid0(VALU_DEP_3) | instskip(NEXT) | instid1(VALU_DEP_2)
	v_dual_cndmask_b32 v9, v9, v11, s0 :: v_dual_cndmask_b32 v6, v6, v12, s1
	v_dual_cndmask_b32 v7, v11, v10, s0 :: v_dual_cndmask_b32 v12, v12, v8, s1
	s_delay_alu instid0(VALU_DEP_2) | instskip(NEXT) | instid1(VALU_DEP_2)
	v_cndmask_b32_e64 v8, v8, v9, s1
	v_alignbit_b32 v15, v6, v12, v13
	s_delay_alu instid0(VALU_DEP_2) | instskip(NEXT) | instid1(VALU_DEP_1)
	v_alignbit_b32 v14, v12, v8, v13
	v_dual_cndmask_b32 v6, v15, v6, vcc_lo :: v_dual_cndmask_b32 v10, v14, v12, vcc_lo
	s_delay_alu instid0(VALU_DEP_1) | instskip(NEXT) | instid1(VALU_DEP_1)
	v_bfe_u32 v11, v6, 29, 1
	v_sub_nc_u32_e32 v12, 0, v11
	v_cndmask_b32_e64 v7, v9, v7, s1
	s_delay_alu instid0(VALU_DEP_4) | instskip(NEXT) | instid1(VALU_DEP_1)
	v_alignbit_b32 v9, v6, v10, 30
	v_xor_b32_e32 v9, v9, v12
	s_delay_alu instid0(VALU_DEP_3) | instskip(NEXT) | instid1(VALU_DEP_1)
	v_alignbit_b32 v13, v8, v7, v13
	v_cndmask_b32_e32 v8, v13, v8, vcc_lo
	s_delay_alu instid0(VALU_DEP_3) | instskip(NEXT) | instid1(VALU_DEP_2)
	v_clz_i32_u32_e32 v13, v9
	v_alignbit_b32 v10, v10, v8, 30
	s_delay_alu instid0(VALU_DEP_2) | instskip(SKIP_1) | instid1(VALU_DEP_2)
	v_min_u32_e32 v13, 32, v13
	v_alignbit_b32 v7, v8, v7, 30
	v_dual_sub_nc_u32 v10, 31, v13 :: v_dual_bitop2_b32 v8, v10, v12 bitop3:0x14
	s_delay_alu instid0(VALU_DEP_2) | instskip(SKIP_1) | instid1(VALU_DEP_3)
	v_dual_lshrrev_b32 v12, 29, v6 :: v_dual_bitop2_b32 v7, v7, v12 bitop3:0x14
	v_dual_lshlrev_b32 v14, 23, v13 :: v_dual_lshrrev_b32 v6, 30, v6
	v_alignbit_b32 v9, v9, v8, v10
	s_delay_alu instid0(VALU_DEP_3) | instskip(NEXT) | instid1(VALU_DEP_4)
	v_alignbit_b32 v7, v8, v7, v10
	v_lshlrev_b32_e32 v8, 31, v12
	s_delay_alu instid0(VALU_DEP_2) | instskip(NEXT) | instid1(VALU_DEP_2)
	v_alignbit_b32 v10, v9, v7, 9
	v_dual_lshrrev_b32 v9, 9, v9 :: v_dual_bitop2_b32 v12, 0.5, v8 bitop3:0x54
	v_or_b32_e32 v8, 0x33000000, v8
	s_delay_alu instid0(VALU_DEP_3) | instskip(NEXT) | instid1(VALU_DEP_3)
	v_clz_i32_u32_e32 v15, v10
	v_sub_nc_u32_e32 v12, v12, v14
	s_delay_alu instid0(VALU_DEP_2) | instskip(NEXT) | instid1(VALU_DEP_1)
	v_min_u32_e32 v14, 32, v15
	v_add_lshl_u32 v13, v14, v13, 23
	s_delay_alu instid0(VALU_DEP_3) | instskip(SKIP_1) | instid1(VALU_DEP_3)
	v_or_b32_e32 v9, v9, v12
	v_not_b32_e32 v12, v14
	v_sub_nc_u32_e32 v8, v8, v13
	s_delay_alu instid0(VALU_DEP_3) | instskip(NEXT) | instid1(VALU_DEP_3)
	v_mul_f32_e32 v15, 0x3fc90fda, v9
	v_alignbit_b32 v7, v10, v7, v12
	s_delay_alu instid0(VALU_DEP_2) | instskip(NEXT) | instid1(VALU_DEP_2)
	v_fma_f32 v10, 0x3fc90fda, v9, -v15
	v_lshrrev_b32_e32 v7, 9, v7
	s_delay_alu instid0(VALU_DEP_2) | instskip(NEXT) | instid1(VALU_DEP_2)
	v_fmamk_f32 v9, v9, 0x33a22168, v10
	v_dual_add_nc_u32 v8, v11, v6 :: v_dual_bitop2_b32 v7, v8, v7 bitop3:0x54
	s_delay_alu instid0(VALU_DEP_1) | instskip(NEXT) | instid1(VALU_DEP_1)
	v_fmac_f32_e32 v9, 0x3fc90fda, v7
	v_add_f32_e32 v7, v15, v9
                                        ; implicit-def: $vgpr9
	s_and_not1_saveexec_b32 s0, s4
	s_cbranch_execnz .LBB1_10
	s_branch .LBB1_11
.LBB1_9:
	s_and_not1_saveexec_b32 s0, s4
.LBB1_10:
	v_rndne_f32_e32 v6, v9
	s_delay_alu instid0(VALU_DEP_1) | instskip(SKIP_1) | instid1(VALU_DEP_2)
	v_fma_f32 v7, 0xbfc90fda, v6, |v1|
	v_cvt_i32_f32_e32 v8, v6
	v_fmamk_f32 v7, v6, 0xb3a22168, v7
	s_delay_alu instid0(VALU_DEP_1)
	v_fmamk_f32 v7, v6, 0xa7c234c4, v7
.LBB1_11:
	s_or_b32 exec_lo, exec_lo, s0
	s_delay_alu instid0(VALU_DEP_1) | instskip(SKIP_3) | instid1(VALU_DEP_2)
	v_dual_mul_f32 v6, v4, v4 :: v_dual_mul_f32 v9, v7, v7
	s_mov_b32 s0, 0xb94c1982
	s_mov_b32 s1, 0x37d75334
	v_dual_lshlrev_b32 v5, 30, v5 :: v_dual_bitop2_b32 v12, 1, v5 bitop3:0x40
	v_dual_fmaak_f32 v10, s0, v6, 0x3c0881c4 :: v_dual_fmaak_f32 v13, s0, v9, 0x3c0881c4
	v_dual_fmaak_f32 v11, s1, v6, 0xbab64f3b :: v_dual_fmaak_f32 v14, s1, v9, 0xbab64f3b
	s_delay_alu instid0(VALU_DEP_3) | instskip(NEXT) | instid1(VALU_DEP_3)
	v_cmp_eq_u32_e32 vcc_lo, 0, v12
	v_dual_fmaak_f32 v10, v6, v10, 0xbe2aaa9d :: v_dual_fmaak_f32 v13, v9, v13, 0xbe2aaa9d
	s_delay_alu instid0(VALU_DEP_3) | instskip(NEXT) | instid1(VALU_DEP_2)
	v_dual_fmaak_f32 v11, v6, v11, 0x3d2aabf7 :: v_dual_fmaak_f32 v14, v9, v14, 0x3d2aabf7
	v_dual_mul_f32 v10, v6, v10 :: v_dual_bitop2_b32 v15, 1, v8 bitop3:0x40
	s_delay_alu instid0(VALU_DEP_3) | instskip(NEXT) | instid1(VALU_DEP_3)
	v_mul_f32_e32 v13, v9, v13
	v_dual_fmaak_f32 v11, v6, v11, 0xbf000004 :: v_dual_fmaak_f32 v14, v9, v14, 0xbf000004
	v_and_b32_e32 v5, 0x80000000, v5
	s_delay_alu instid0(VALU_DEP_3) | instskip(NEXT) | instid1(VALU_DEP_3)
	v_dual_fmac_f32 v4, v4, v10 :: v_dual_fmac_f32 v7, v7, v13
	v_fma_f32 v6, v6, v11, 1.0
	s_delay_alu instid0(VALU_DEP_4) | instskip(NEXT) | instid1(VALU_DEP_2)
	v_fma_f32 v9, v9, v14, 1.0
	v_dual_cndmask_b32 v4, v6, v4, vcc_lo :: v_dual_bitop2_b32 v0, v0, v1 bitop3:0x14
	v_cmp_eq_u32_e32 vcc_lo, 0, v15
	v_lshlrev_b32_e32 v6, 30, v8
	s_delay_alu instid0(VALU_DEP_3) | instskip(SKIP_2) | instid1(VALU_DEP_2)
	v_xor3_b32 v0, v0, v5, v4
	v_cndmask_b32_e64 v7, -v7, v9, vcc_lo
	v_cmp_class_f32_e64 vcc_lo, v1, 0x1f8
	v_bitop3_b32 v4, v6, v7, 0x80000000 bitop3:0x6c
	s_delay_alu instid0(VALU_DEP_4) | instskip(NEXT) | instid1(VALU_DEP_2)
	v_cndmask_b32_e32 v0, 0x7fc00000, v0, vcc_lo
	v_cndmask_b32_e32 v1, 0x7fc00000, v4, vcc_lo
	s_delay_alu instid0(VALU_DEP_1) | instskip(NEXT) | instid1(VALU_DEP_1)
	v_div_scale_f32 v4, null, v1, v1, v0
	v_rcp_f32_e32 v5, v4
	v_nop
	s_delay_alu instid0(TRANS32_DEP_1) | instskip(NEXT) | instid1(VALU_DEP_1)
	v_fma_f32 v6, -v4, v5, 1.0
	v_fmac_f32_e32 v5, v6, v5
	v_div_scale_f32 v7, vcc_lo, v0, v1, v0
	s_delay_alu instid0(VALU_DEP_1) | instskip(NEXT) | instid1(VALU_DEP_1)
	v_mul_f32_e32 v6, v7, v5
	v_fma_f32 v8, -v4, v6, v7
	s_delay_alu instid0(VALU_DEP_1) | instskip(NEXT) | instid1(VALU_DEP_1)
	v_fmac_f32_e32 v6, v8, v5
	v_fma_f32 v4, -v4, v6, v7
	s_delay_alu instid0(VALU_DEP_1) | instskip(NEXT) | instid1(VALU_DEP_1)
	v_div_fmas_f32 v4, v4, v5, v6
	v_div_fixup_f32 v4, v4, v1, v0
	v_lshl_add_u64 v[0:1], v[2:3], 2, s[2:3]
	global_store_b32 v[0:1], v4, off
.LBB1_12:
	s_endpgm
	.section	.rodata,"a",@progbits
	.p2align	6, 0x0
	.amdhsa_kernel _Z20backward_pass_kernelPKfS0_Pfi
		.amdhsa_group_segment_fixed_size 0
		.amdhsa_private_segment_fixed_size 0
		.amdhsa_kernarg_size 288
		.amdhsa_user_sgpr_count 2
		.amdhsa_user_sgpr_dispatch_ptr 0
		.amdhsa_user_sgpr_queue_ptr 0
		.amdhsa_user_sgpr_kernarg_segment_ptr 1
		.amdhsa_user_sgpr_dispatch_id 0
		.amdhsa_user_sgpr_kernarg_preload_length 0
		.amdhsa_user_sgpr_kernarg_preload_offset 0
		.amdhsa_user_sgpr_private_segment_size 0
		.amdhsa_wavefront_size32 1
		.amdhsa_uses_dynamic_stack 0
		.amdhsa_enable_private_segment 0
		.amdhsa_system_sgpr_workgroup_id_x 1
		.amdhsa_system_sgpr_workgroup_id_y 0
		.amdhsa_system_sgpr_workgroup_id_z 0
		.amdhsa_system_sgpr_workgroup_info 0
		.amdhsa_system_vgpr_workitem_id 0
		.amdhsa_next_free_vgpr 22
		.amdhsa_next_free_sgpr 12
		.amdhsa_named_barrier_count 0
		.amdhsa_reserve_vcc 1
		.amdhsa_float_round_mode_32 0
		.amdhsa_float_round_mode_16_64 0
		.amdhsa_float_denorm_mode_32 3
		.amdhsa_float_denorm_mode_16_64 3
		.amdhsa_fp16_overflow 0
		.amdhsa_memory_ordered 1
		.amdhsa_forward_progress 1
		.amdhsa_inst_pref_size 19
		.amdhsa_round_robin_scheduling 0
		.amdhsa_exception_fp_ieee_invalid_op 0
		.amdhsa_exception_fp_denorm_src 0
		.amdhsa_exception_fp_ieee_div_zero 0
		.amdhsa_exception_fp_ieee_overflow 0
		.amdhsa_exception_fp_ieee_underflow 0
		.amdhsa_exception_fp_ieee_inexact 0
		.amdhsa_exception_int_div_zero 0
	.end_amdhsa_kernel
	.text
.Lfunc_end1:
	.size	_Z20backward_pass_kernelPKfS0_Pfi, .Lfunc_end1-_Z20backward_pass_kernelPKfS0_Pfi
                                        ; -- End function
	.set _Z20backward_pass_kernelPKfS0_Pfi.num_vgpr, 22
	.set _Z20backward_pass_kernelPKfS0_Pfi.num_agpr, 0
	.set _Z20backward_pass_kernelPKfS0_Pfi.numbered_sgpr, 12
	.set _Z20backward_pass_kernelPKfS0_Pfi.num_named_barrier, 0
	.set _Z20backward_pass_kernelPKfS0_Pfi.private_seg_size, 0
	.set _Z20backward_pass_kernelPKfS0_Pfi.uses_vcc, 1
	.set _Z20backward_pass_kernelPKfS0_Pfi.uses_flat_scratch, 0
	.set _Z20backward_pass_kernelPKfS0_Pfi.has_dyn_sized_stack, 0
	.set _Z20backward_pass_kernelPKfS0_Pfi.has_recursion, 0
	.set _Z20backward_pass_kernelPKfS0_Pfi.has_indirect_call, 0
	.section	.AMDGPU.csdata,"",@progbits
; Kernel info:
; codeLenInByte = 2396
; TotalNumSgprs: 14
; NumVgprs: 22
; ScratchSize: 0
; MemoryBound: 0
; FloatMode: 240
; IeeeMode: 1
; LDSByteSize: 0 bytes/workgroup (compile time only)
; SGPRBlocks: 0
; VGPRBlocks: 1
; NumSGPRsForWavesPerEU: 14
; NumVGPRsForWavesPerEU: 22
; NamedBarCnt: 0
; Occupancy: 16
; WaveLimiterHint : 0
; COMPUTE_PGM_RSRC2:SCRATCH_EN: 0
; COMPUTE_PGM_RSRC2:USER_SGPR: 2
; COMPUTE_PGM_RSRC2:TRAP_HANDLER: 0
; COMPUTE_PGM_RSRC2:TGID_X_EN: 1
; COMPUTE_PGM_RSRC2:TGID_Y_EN: 0
; COMPUTE_PGM_RSRC2:TGID_Z_EN: 0
; COMPUTE_PGM_RSRC2:TIDIG_COMP_CNT: 0
	.text
	.protected	_Z20data_prefetch_kernelPfii ; -- Begin function _Z20data_prefetch_kernelPfii
	.globl	_Z20data_prefetch_kernelPfii
	.p2align	8
	.type	_Z20data_prefetch_kernelPfii,@function
_Z20data_prefetch_kernelPfii:           ; @_Z20data_prefetch_kernelPfii
; %bb.0:
	s_clause 0x1
	s_load_b32 s6, s[0:1], 0x1c
	s_load_b64 s[4:5], s[0:1], 0x8
	s_bfe_u32 s2, ttmp6, 0x4000c
	s_and_b32 s3, ttmp6, 15
	s_add_co_i32 s2, s2, 1
	s_getreg_b32 s7, hwreg(HW_REG_IB_STS2, 6, 4)
	s_mul_i32 s2, ttmp9, s2
	s_delay_alu instid0(SALU_CYCLE_1) | instskip(SKIP_4) | instid1(SALU_CYCLE_1)
	s_add_co_i32 s3, s3, s2
	s_cmp_eq_u32 s7, 0
	s_cselect_b32 s7, ttmp9, s3
	s_wait_kmcnt 0x0
	s_and_b32 s2, s6, 0xffff
	v_mad_u32 v1, s7, s2, v0
	s_mov_b32 s2, exec_lo
	s_delay_alu instid0(VALU_DEP_1)
	v_cmpx_gt_i32_e64 s4, v1
	s_cbranch_execz .LBB2_4
; %bb.1:
	s_load_b64 s[2:3], s[0:1], 0x0
	v_and_b32_e32 v0, 1, v0
	s_bitcmp1_b32 s7, 0
	v_dual_add_nc_u32 v2, s5, v1 :: v_dual_bitop2_b32 v3, 1, v1 bitop3:0x40
	s_wait_xcnt 0x0
	s_cselect_b32 s1, -1, 0
	s_bitcmp1_b32 s6, 0
	v_cmp_eq_u32_e64 s0, 1, v0
	s_cselect_b32 s4, -1, 0
	v_cmp_eq_u32_e32 vcc_lo, 0, v3
	s_and_b32 s1, s1, s4
	v_cvt_f32_i32_e32 v5, v2
	s_xor_b32 s0, s1, s0
	v_cndmask_b32_e64 v0, -1.0, 1.0, vcc_lo
	v_cndmask_b32_e64 v2, 1.0, -1.0, vcc_lo
	v_cndmask_b32_e64 v3, 1.0, -1.0, s0
	v_cndmask_b32_e64 v4, -1.0, 1.0, s0
	s_movk_i32 s0, 0x100
.LBB2_2:                                ; =>This Inner Loop Header: Depth=1
	s_delay_alu instid0(VALU_DEP_1) | instskip(SKIP_1) | instid1(SALU_CYCLE_1)
	v_add_f32_e32 v5, v5, v0
	s_add_co_i32 s0, s0, -16
	s_cmp_eq_u32 s0, 0
	s_delay_alu instid0(VALU_DEP_1) | instskip(NEXT) | instid1(VALU_DEP_1)
	v_add_f32_e32 v5, v5, v2
	v_add_f32_e32 v5, v5, v3
	s_delay_alu instid0(VALU_DEP_1) | instskip(NEXT) | instid1(VALU_DEP_1)
	v_add_f32_e32 v5, v5, v4
	v_add_f32_e32 v5, v5, v0
	;; [unrolled: 3-line block ×7, first 2 shown]
	s_delay_alu instid0(VALU_DEP_1)
	v_add_f32_e32 v5, v5, v4
	s_cbranch_scc0 .LBB2_2
; %bb.3:
	s_wait_kmcnt 0x0
	global_store_b32 v1, v5, s[2:3] scale_offset
.LBB2_4:
	s_endpgm
	.section	.rodata,"a",@progbits
	.p2align	6, 0x0
	.amdhsa_kernel _Z20data_prefetch_kernelPfii
		.amdhsa_group_segment_fixed_size 0
		.amdhsa_private_segment_fixed_size 0
		.amdhsa_kernarg_size 272
		.amdhsa_user_sgpr_count 2
		.amdhsa_user_sgpr_dispatch_ptr 0
		.amdhsa_user_sgpr_queue_ptr 0
		.amdhsa_user_sgpr_kernarg_segment_ptr 1
		.amdhsa_user_sgpr_dispatch_id 0
		.amdhsa_user_sgpr_kernarg_preload_length 0
		.amdhsa_user_sgpr_kernarg_preload_offset 0
		.amdhsa_user_sgpr_private_segment_size 0
		.amdhsa_wavefront_size32 1
		.amdhsa_uses_dynamic_stack 0
		.amdhsa_enable_private_segment 0
		.amdhsa_system_sgpr_workgroup_id_x 1
		.amdhsa_system_sgpr_workgroup_id_y 0
		.amdhsa_system_sgpr_workgroup_id_z 0
		.amdhsa_system_sgpr_workgroup_info 0
		.amdhsa_system_vgpr_workitem_id 0
		.amdhsa_next_free_vgpr 6
		.amdhsa_next_free_sgpr 8
		.amdhsa_named_barrier_count 0
		.amdhsa_reserve_vcc 1
		.amdhsa_float_round_mode_32 0
		.amdhsa_float_round_mode_16_64 0
		.amdhsa_float_denorm_mode_32 3
		.amdhsa_float_denorm_mode_16_64 3
		.amdhsa_fp16_overflow 0
		.amdhsa_memory_ordered 1
		.amdhsa_forward_progress 1
		.amdhsa_inst_pref_size 3
		.amdhsa_round_robin_scheduling 0
		.amdhsa_exception_fp_ieee_invalid_op 0
		.amdhsa_exception_fp_denorm_src 0
		.amdhsa_exception_fp_ieee_div_zero 0
		.amdhsa_exception_fp_ieee_overflow 0
		.amdhsa_exception_fp_ieee_underflow 0
		.amdhsa_exception_fp_ieee_inexact 0
		.amdhsa_exception_int_div_zero 0
	.end_amdhsa_kernel
	.text
.Lfunc_end2:
	.size	_Z20data_prefetch_kernelPfii, .Lfunc_end2-_Z20data_prefetch_kernelPfii
                                        ; -- End function
	.set _Z20data_prefetch_kernelPfii.num_vgpr, 6
	.set _Z20data_prefetch_kernelPfii.num_agpr, 0
	.set _Z20data_prefetch_kernelPfii.numbered_sgpr, 8
	.set _Z20data_prefetch_kernelPfii.num_named_barrier, 0
	.set _Z20data_prefetch_kernelPfii.private_seg_size, 0
	.set _Z20data_prefetch_kernelPfii.uses_vcc, 1
	.set _Z20data_prefetch_kernelPfii.uses_flat_scratch, 0
	.set _Z20data_prefetch_kernelPfii.has_dyn_sized_stack, 0
	.set _Z20data_prefetch_kernelPfii.has_recursion, 0
	.set _Z20data_prefetch_kernelPfii.has_indirect_call, 0
	.section	.AMDGPU.csdata,"",@progbits
; Kernel info:
; codeLenInByte = 336
; TotalNumSgprs: 10
; NumVgprs: 6
; ScratchSize: 0
; MemoryBound: 0
; FloatMode: 240
; IeeeMode: 1
; LDSByteSize: 0 bytes/workgroup (compile time only)
; SGPRBlocks: 0
; VGPRBlocks: 0
; NumSGPRsForWavesPerEU: 10
; NumVGPRsForWavesPerEU: 6
; NamedBarCnt: 0
; Occupancy: 16
; WaveLimiterHint : 0
; COMPUTE_PGM_RSRC2:SCRATCH_EN: 0
; COMPUTE_PGM_RSRC2:USER_SGPR: 2
; COMPUTE_PGM_RSRC2:TRAP_HANDLER: 0
; COMPUTE_PGM_RSRC2:TGID_X_EN: 1
; COMPUTE_PGM_RSRC2:TGID_Y_EN: 0
; COMPUTE_PGM_RSRC2:TGID_Z_EN: 0
; COMPUTE_PGM_RSRC2:TIDIG_COMP_CNT: 0
	.text
	.protected	_Z17sgd_update_kernelPfPKfif ; -- Begin function _Z17sgd_update_kernelPfPKfif
	.globl	_Z17sgd_update_kernelPfPKfif
	.p2align	8
	.type	_Z17sgd_update_kernelPfPKfif,@function
_Z17sgd_update_kernelPfPKfif:           ; @_Z17sgd_update_kernelPfPKfif
; %bb.0:
	s_clause 0x1
	s_load_b32 s4, s[0:1], 0x24
	s_load_b64 s[2:3], s[0:1], 0x10
	s_bfe_u32 s5, ttmp6, 0x4000c
	s_and_b32 s6, ttmp6, 15
	s_add_co_i32 s5, s5, 1
	s_getreg_b32 s7, hwreg(HW_REG_IB_STS2, 6, 4)
	s_mul_i32 s5, ttmp9, s5
	s_delay_alu instid0(SALU_CYCLE_1) | instskip(SKIP_4) | instid1(SALU_CYCLE_1)
	s_add_co_i32 s6, s6, s5
	s_wait_kmcnt 0x0
	s_and_b32 s4, s4, 0xffff
	s_cmp_eq_u32 s7, 0
	s_cselect_b32 s5, ttmp9, s6
	v_mad_u32 v0, s5, s4, v0
	s_delay_alu instid0(VALU_DEP_1)
	v_cmp_gt_i32_e32 vcc_lo, s2, v0
	s_and_saveexec_b32 s2, vcc_lo
	s_cbranch_execz .LBB3_2
; %bb.1:
	s_load_b128 s[4:7], s[0:1], 0x0
	s_wait_kmcnt 0x0
	s_clause 0x1
	global_load_b32 v1, v0, s[6:7] scale_offset
	global_load_b32 v2, v0, s[4:5] scale_offset
	s_wait_loadcnt 0x0
	v_fma_f32 v1, -s3, v1, v2
	global_store_b32 v0, v1, s[4:5] scale_offset
.LBB3_2:
	s_endpgm
	.section	.rodata,"a",@progbits
	.p2align	6, 0x0
	.amdhsa_kernel _Z17sgd_update_kernelPfPKfif
		.amdhsa_group_segment_fixed_size 0
		.amdhsa_private_segment_fixed_size 0
		.amdhsa_kernarg_size 280
		.amdhsa_user_sgpr_count 2
		.amdhsa_user_sgpr_dispatch_ptr 0
		.amdhsa_user_sgpr_queue_ptr 0
		.amdhsa_user_sgpr_kernarg_segment_ptr 1
		.amdhsa_user_sgpr_dispatch_id 0
		.amdhsa_user_sgpr_kernarg_preload_length 0
		.amdhsa_user_sgpr_kernarg_preload_offset 0
		.amdhsa_user_sgpr_private_segment_size 0
		.amdhsa_wavefront_size32 1
		.amdhsa_uses_dynamic_stack 0
		.amdhsa_enable_private_segment 0
		.amdhsa_system_sgpr_workgroup_id_x 1
		.amdhsa_system_sgpr_workgroup_id_y 0
		.amdhsa_system_sgpr_workgroup_id_z 0
		.amdhsa_system_sgpr_workgroup_info 0
		.amdhsa_system_vgpr_workitem_id 0
		.amdhsa_next_free_vgpr 3
		.amdhsa_next_free_sgpr 8
		.amdhsa_named_barrier_count 0
		.amdhsa_reserve_vcc 1
		.amdhsa_float_round_mode_32 0
		.amdhsa_float_round_mode_16_64 0
		.amdhsa_float_denorm_mode_32 3
		.amdhsa_float_denorm_mode_16_64 3
		.amdhsa_fp16_overflow 0
		.amdhsa_memory_ordered 1
		.amdhsa_forward_progress 1
		.amdhsa_inst_pref_size 2
		.amdhsa_round_robin_scheduling 0
		.amdhsa_exception_fp_ieee_invalid_op 0
		.amdhsa_exception_fp_denorm_src 0
		.amdhsa_exception_fp_ieee_div_zero 0
		.amdhsa_exception_fp_ieee_overflow 0
		.amdhsa_exception_fp_ieee_underflow 0
		.amdhsa_exception_fp_ieee_inexact 0
		.amdhsa_exception_int_div_zero 0
	.end_amdhsa_kernel
	.text
.Lfunc_end3:
	.size	_Z17sgd_update_kernelPfPKfif, .Lfunc_end3-_Z17sgd_update_kernelPfPKfif
                                        ; -- End function
	.set _Z17sgd_update_kernelPfPKfif.num_vgpr, 3
	.set _Z17sgd_update_kernelPfPKfif.num_agpr, 0
	.set _Z17sgd_update_kernelPfPKfif.numbered_sgpr, 8
	.set _Z17sgd_update_kernelPfPKfif.num_named_barrier, 0
	.set _Z17sgd_update_kernelPfPKfif.private_seg_size, 0
	.set _Z17sgd_update_kernelPfPKfif.uses_vcc, 1
	.set _Z17sgd_update_kernelPfPKfif.uses_flat_scratch, 0
	.set _Z17sgd_update_kernelPfPKfif.has_dyn_sized_stack, 0
	.set _Z17sgd_update_kernelPfPKfif.has_recursion, 0
	.set _Z17sgd_update_kernelPfPKfif.has_indirect_call, 0
	.section	.AMDGPU.csdata,"",@progbits
; Kernel info:
; codeLenInByte = 164
; TotalNumSgprs: 10
; NumVgprs: 3
; ScratchSize: 0
; MemoryBound: 0
; FloatMode: 240
; IeeeMode: 1
; LDSByteSize: 0 bytes/workgroup (compile time only)
; SGPRBlocks: 0
; VGPRBlocks: 0
; NumSGPRsForWavesPerEU: 10
; NumVGPRsForWavesPerEU: 3
; NamedBarCnt: 0
; Occupancy: 16
; WaveLimiterHint : 0
; COMPUTE_PGM_RSRC2:SCRATCH_EN: 0
; COMPUTE_PGM_RSRC2:USER_SGPR: 2
; COMPUTE_PGM_RSRC2:TRAP_HANDLER: 0
; COMPUTE_PGM_RSRC2:TGID_X_EN: 1
; COMPUTE_PGM_RSRC2:TGID_Y_EN: 0
; COMPUTE_PGM_RSRC2:TGID_Z_EN: 0
; COMPUTE_PGM_RSRC2:TIDIG_COMP_CNT: 0
	.text
	.p2alignl 7, 3214868480
	.fill 96, 4, 3214868480
	.section	.AMDGPU.gpr_maximums,"",@progbits
	.set amdgpu.max_num_vgpr, 0
	.set amdgpu.max_num_agpr, 0
	.set amdgpu.max_num_sgpr, 0
	.text
	.type	__hip_cuid_4dfb1d11b141adcd,@object ; @__hip_cuid_4dfb1d11b141adcd
	.section	.bss,"aw",@nobits
	.globl	__hip_cuid_4dfb1d11b141adcd
__hip_cuid_4dfb1d11b141adcd:
	.byte	0                               ; 0x0
	.size	__hip_cuid_4dfb1d11b141adcd, 1

	.ident	"AMD clang version 22.0.0git (https://github.com/RadeonOpenCompute/llvm-project roc-7.2.4 26084 f58b06dce1f9c15707c5f808fd002e18c2accf7e)"
	.section	".note.GNU-stack","",@progbits
	.addrsig
	.addrsig_sym __hip_cuid_4dfb1d11b141adcd
	.amdgpu_metadata
---
amdhsa.kernels:
  - .args:
      - .actual_access:  read_only
        .address_space:  global
        .offset:         0
        .size:           8
        .value_kind:     global_buffer
      - .actual_access:  write_only
        .address_space:  global
        .offset:         8
        .size:           8
        .value_kind:     global_buffer
      - .offset:         16
        .size:           4
        .value_kind:     by_value
      - .offset:         20
        .size:           4
        .value_kind:     by_value
      - .offset:         24
        .size:           4
        .value_kind:     hidden_block_count_x
      - .offset:         28
        .size:           4
        .value_kind:     hidden_block_count_y
      - .offset:         32
        .size:           4
        .value_kind:     hidden_block_count_z
      - .offset:         36
        .size:           2
        .value_kind:     hidden_group_size_x
      - .offset:         38
        .size:           2
        .value_kind:     hidden_group_size_y
      - .offset:         40
        .size:           2
        .value_kind:     hidden_group_size_z
      - .offset:         42
        .size:           2
        .value_kind:     hidden_remainder_x
      - .offset:         44
        .size:           2
        .value_kind:     hidden_remainder_y
      - .offset:         46
        .size:           2
        .value_kind:     hidden_remainder_z
      - .offset:         64
        .size:           8
        .value_kind:     hidden_global_offset_x
      - .offset:         72
        .size:           8
        .value_kind:     hidden_global_offset_y
      - .offset:         80
        .size:           8
        .value_kind:     hidden_global_offset_z
      - .offset:         88
        .size:           2
        .value_kind:     hidden_grid_dims
    .group_segment_fixed_size: 0
    .kernarg_segment_align: 8
    .kernarg_segment_size: 280
    .language:       OpenCL C
    .language_version:
      - 2
      - 0
    .max_flat_workgroup_size: 1024
    .name:           _Z19forward_pass_kernelPKfPfif
    .private_segment_fixed_size: 0
    .sgpr_count:     10
    .sgpr_spill_count: 0
    .symbol:         _Z19forward_pass_kernelPKfPfif.kd
    .uniform_work_group_size: 1
    .uses_dynamic_stack: false
    .vgpr_count:     20
    .vgpr_spill_count: 0
    .wavefront_size: 32
  - .args:
      - .actual_access:  read_only
        .address_space:  global
        .offset:         0
        .size:           8
        .value_kind:     global_buffer
      - .actual_access:  read_only
        .address_space:  global
        .offset:         8
        .size:           8
        .value_kind:     global_buffer
      - .actual_access:  write_only
        .address_space:  global
        .offset:         16
        .size:           8
        .value_kind:     global_buffer
      - .offset:         24
        .size:           4
        .value_kind:     by_value
      - .offset:         32
        .size:           4
        .value_kind:     hidden_block_count_x
      - .offset:         36
        .size:           4
        .value_kind:     hidden_block_count_y
      - .offset:         40
        .size:           4
        .value_kind:     hidden_block_count_z
      - .offset:         44
        .size:           2
        .value_kind:     hidden_group_size_x
      - .offset:         46
        .size:           2
        .value_kind:     hidden_group_size_y
      - .offset:         48
        .size:           2
        .value_kind:     hidden_group_size_z
      - .offset:         50
        .size:           2
        .value_kind:     hidden_remainder_x
      - .offset:         52
        .size:           2
        .value_kind:     hidden_remainder_y
      - .offset:         54
        .size:           2
        .value_kind:     hidden_remainder_z
      - .offset:         72
        .size:           8
        .value_kind:     hidden_global_offset_x
      - .offset:         80
        .size:           8
        .value_kind:     hidden_global_offset_y
      - .offset:         88
        .size:           8
        .value_kind:     hidden_global_offset_z
      - .offset:         96
        .size:           2
        .value_kind:     hidden_grid_dims
    .group_segment_fixed_size: 0
    .kernarg_segment_align: 8
    .kernarg_segment_size: 288
    .language:       OpenCL C
    .language_version:
      - 2
      - 0
    .max_flat_workgroup_size: 1024
    .name:           _Z20backward_pass_kernelPKfS0_Pfi
    .private_segment_fixed_size: 0
    .sgpr_count:     14
    .sgpr_spill_count: 0
    .symbol:         _Z20backward_pass_kernelPKfS0_Pfi.kd
    .uniform_work_group_size: 1
    .uses_dynamic_stack: false
    .vgpr_count:     22
    .vgpr_spill_count: 0
    .wavefront_size: 32
  - .args:
      - .actual_access:  write_only
        .address_space:  global
        .offset:         0
        .size:           8
        .value_kind:     global_buffer
      - .offset:         8
        .size:           4
        .value_kind:     by_value
      - .offset:         12
        .size:           4
        .value_kind:     by_value
      - .offset:         16
        .size:           4
        .value_kind:     hidden_block_count_x
      - .offset:         20
        .size:           4
        .value_kind:     hidden_block_count_y
      - .offset:         24
        .size:           4
        .value_kind:     hidden_block_count_z
      - .offset:         28
        .size:           2
        .value_kind:     hidden_group_size_x
      - .offset:         30
        .size:           2
        .value_kind:     hidden_group_size_y
      - .offset:         32
        .size:           2
        .value_kind:     hidden_group_size_z
      - .offset:         34
        .size:           2
        .value_kind:     hidden_remainder_x
      - .offset:         36
        .size:           2
        .value_kind:     hidden_remainder_y
      - .offset:         38
        .size:           2
        .value_kind:     hidden_remainder_z
      - .offset:         56
        .size:           8
        .value_kind:     hidden_global_offset_x
      - .offset:         64
        .size:           8
        .value_kind:     hidden_global_offset_y
      - .offset:         72
        .size:           8
        .value_kind:     hidden_global_offset_z
      - .offset:         80
        .size:           2
        .value_kind:     hidden_grid_dims
    .group_segment_fixed_size: 0
    .kernarg_segment_align: 8
    .kernarg_segment_size: 272
    .language:       OpenCL C
    .language_version:
      - 2
      - 0
    .max_flat_workgroup_size: 1024
    .name:           _Z20data_prefetch_kernelPfii
    .private_segment_fixed_size: 0
    .sgpr_count:     10
    .sgpr_spill_count: 0
    .symbol:         _Z20data_prefetch_kernelPfii.kd
    .uniform_work_group_size: 1
    .uses_dynamic_stack: false
    .vgpr_count:     6
    .vgpr_spill_count: 0
    .wavefront_size: 32
  - .args:
      - .address_space:  global
        .offset:         0
        .size:           8
        .value_kind:     global_buffer
      - .actual_access:  read_only
        .address_space:  global
        .offset:         8
        .size:           8
        .value_kind:     global_buffer
      - .offset:         16
        .size:           4
        .value_kind:     by_value
      - .offset:         20
        .size:           4
        .value_kind:     by_value
      - .offset:         24
        .size:           4
        .value_kind:     hidden_block_count_x
      - .offset:         28
        .size:           4
        .value_kind:     hidden_block_count_y
      - .offset:         32
        .size:           4
        .value_kind:     hidden_block_count_z
      - .offset:         36
        .size:           2
        .value_kind:     hidden_group_size_x
      - .offset:         38
        .size:           2
        .value_kind:     hidden_group_size_y
      - .offset:         40
        .size:           2
        .value_kind:     hidden_group_size_z
      - .offset:         42
        .size:           2
        .value_kind:     hidden_remainder_x
      - .offset:         44
        .size:           2
        .value_kind:     hidden_remainder_y
      - .offset:         46
        .size:           2
        .value_kind:     hidden_remainder_z
      - .offset:         64
        .size:           8
        .value_kind:     hidden_global_offset_x
      - .offset:         72
        .size:           8
        .value_kind:     hidden_global_offset_y
      - .offset:         80
        .size:           8
        .value_kind:     hidden_global_offset_z
      - .offset:         88
        .size:           2
        .value_kind:     hidden_grid_dims
    .group_segment_fixed_size: 0
    .kernarg_segment_align: 8
    .kernarg_segment_size: 280
    .language:       OpenCL C
    .language_version:
      - 2
      - 0
    .max_flat_workgroup_size: 1024
    .name:           _Z17sgd_update_kernelPfPKfif
    .private_segment_fixed_size: 0
    .sgpr_count:     10
    .sgpr_spill_count: 0
    .symbol:         _Z17sgd_update_kernelPfPKfif.kd
    .uniform_work_group_size: 1
    .uses_dynamic_stack: false
    .vgpr_count:     3
    .vgpr_spill_count: 0
    .wavefront_size: 32
amdhsa.target:   amdgcn-amd-amdhsa--gfx1250
amdhsa.version:
  - 1
  - 2
...

	.end_amdgpu_metadata
